;; amdgpu-corpus repo=ROCm/AMDMIGraphX kind=compiled arch=gfx1030 opt=O3
	.text
	.amdgcn_target "amdgcn-amd-amdhsa--gfx1030"
	.amdhsa_code_object_version 6
	.protected	softmax_f32             ; -- Begin function softmax_f32
	.globl	softmax_f32
	.p2align	8
	.type	softmax_f32,@function
softmax_f32:                            ; @softmax_f32
; %bb.0:
	s_clause 0x1
	s_load_dword s0, s[4:5], 0x1c
	s_load_dwordx4 s[8:11], s[4:5], 0x0
	v_mov_b32_e32 v3, 0
	v_lshlrev_b32_e32 v6, 2, v0
	v_cmp_gt_u32_e64 s2, 0x300, v0
	v_mov_b32_e32 v7, 0
	s_waitcnt lgkmcnt(0)
	s_and_b32 s0, s0, 0xffff
	s_mul_i32 s6, s6, s0
	v_add_lshl_u32 v1, s6, v0, 2
	v_and_b32_e32 v2, 0xfffffc00, v1
	v_lshlrev_b64 v[1:2], 2, v[2:3]
	v_add_co_u32 v4, vcc_lo, s8, v1
	v_add_co_ci_u32_e32 v5, vcc_lo, s9, v2, vcc_lo
	v_add_co_u32 v4, vcc_lo, v4, v6
	v_add_co_ci_u32_e32 v5, vcc_lo, 0, v5, vcc_lo
	global_load_dword v9, v[4:5], off
	s_and_saveexec_b32 s0, s2
	s_cbranch_execz .LBB0_2
; %bb.1:
	global_load_dword v7, v[4:5], off offset:1024
.LBB0_2:
	s_or_b32 exec_lo, exec_lo, s0
	v_cmp_gt_u32_e64 s1, 0x200, v0
	s_and_saveexec_b32 s0, s1
	s_cbranch_execz .LBB0_4
; %bb.3:
	v_add_co_u32 v10, vcc_lo, 0x800, v4
	v_add_co_ci_u32_e32 v11, vcc_lo, 0, v5, vcc_lo
	global_load_dword v3, v[10:11], off
.LBB0_4:
	s_or_b32 exec_lo, exec_lo, s0
	v_cmp_gt_u32_e64 s0, 0x100, v0
	v_mov_b32_e32 v8, 0
	s_and_saveexec_b32 s3, s0
	s_cbranch_execz .LBB0_6
; %bb.5:
	v_add_co_u32 v4, vcc_lo, 0x800, v4
	v_add_co_ci_u32_e32 v5, vcc_lo, 0, v5, vcc_lo
	global_load_dword v8, v[4:5], off offset:1024
.LBB0_6:
	s_or_b32 exec_lo, exec_lo, s3
	s_waitcnt vmcnt(0)
	v_max_f32_e32 v4, v9, v9
	v_max_f32_e32 v5, v7, v7
	;; [unrolled: 1-line block ×5, first 2 shown]
	v_cndmask_b32_e64 v4, v4, v5, s2
	v_max_f32_e32 v5, v4, v10
	v_and_b32_e32 v10, 31, v0
	v_lshrrev_b32_e32 v0, 3, v0
	v_cndmask_b32_e64 v4, v4, v5, s1
	v_max_f32_e32 v5, v8, v8
	v_cmp_eq_u32_e32 vcc_lo, 31, v10
	v_max_f32_e32 v5, v4, v5
	v_cndmask_b32_e64 v4, v4, v5, s0
	;;#ASMSTART
	s_nop 4
v_max_f32 v4 v4 v4 row_shr:1
s_nop 1
v_max_f32 v4 v4 v4 row_shr:2
s_nop 1
v_max_f32 v4 v4 v4 row_shr:4 bank_mask:0xe
s_nop 1
v_max_f32 v4 v4 v4 row_shr:8 bank_mask:0xc
s_nop 1

	;;#ASMEND
	ds_swizzle_b32 v5, v4 offset:swizzle(BROADCAST,32,15)
	s_and_saveexec_b32 s3, vcc_lo
	s_cbranch_execz .LBB0_8
; %bb.7:
	s_waitcnt lgkmcnt(0)
	v_max_f32_e32 v5, v5, v5
	v_max_f32_e32 v4, v4, v4
	;; [unrolled: 1-line block ×3, first 2 shown]
	v_and_b32_e32 v5, 0x7c, v0
	ds_write_b32 v5, v4
.LBB0_8:
	s_or_b32 exec_lo, exec_lo, s3
	v_mov_b32_e32 v4, 0
	s_waitcnt lgkmcnt(0)
	s_barrier
	buffer_gl0_inv
	ds_read_b128 v[10:13], v4
	ds_read_b128 v[14:17], v4 offset:16
	s_waitcnt lgkmcnt(1)
	v_max3_f32 v5, v10, 0xff7fffff, v11
	v_max3_f32 v5, v5, v12, v13
	s_waitcnt lgkmcnt(0)
	v_max3_f32 v5, v5, v14, v15
	v_max3_f32 v5, v5, v16, v17
	v_sub_f32_e32 v9, v9, v5
	v_sub_f32_e32 v7, v7, v5
	v_sub_f32_e32 v3, v3, v5
	v_sub_f32_e32 v10, v8, v5
	v_mul_f32_e32 v5, 0x3fb8aa3b, v9
	v_mul_f32_e32 v8, 0x3fb8aa3b, v7
	v_mul_f32_e32 v11, 0x3fb8aa3b, v3
	v_mul_f32_e32 v12, 0x3fb8aa3b, v10
	v_cmp_ngt_f32_e64 s3, 0xc2ce8ed0, v9
	v_fma_f32 v13, 0x3fb8aa3b, v9, -v5
	v_rndne_f32_e32 v14, v5
	v_fma_f32 v15, 0x3fb8aa3b, v7, -v8
	v_rndne_f32_e32 v16, v8
	v_fma_f32 v17, 0x3fb8aa3b, v3, -v11
	v_fmac_f32_e32 v13, 0x32a5705f, v9
	v_sub_f32_e32 v5, v5, v14
	v_fmac_f32_e32 v15, 0x32a5705f, v7
	v_sub_f32_e32 v8, v8, v16
	v_rndne_f32_e32 v18, v11
	v_fmac_f32_e32 v17, 0x32a5705f, v3
	v_add_f32_e32 v5, v5, v13
	v_cvt_i32_f32_e32 v13, v14
	v_add_f32_e32 v8, v8, v15
	v_sub_f32_e32 v11, v11, v18
	v_cvt_i32_f32_e32 v14, v16
	v_exp_f32_e32 v5, v5
	v_fma_f32 v19, 0x3fb8aa3b, v10, -v12
	v_exp_f32_e32 v8, v8
	v_rndne_f32_e32 v20, v12
	v_add_f32_e32 v11, v11, v17
	v_fmac_f32_e32 v19, 0x32a5705f, v10
	v_sub_f32_e32 v12, v12, v20
	v_exp_f32_e32 v11, v11
	v_ldexp_f32 v5, v5, v13
	v_cvt_i32_f32_e32 v13, v18
	v_ldexp_f32 v8, v8, v14
	v_add_f32_e32 v12, v12, v19
	v_cndmask_b32_e64 v5, 0, v5, s3
	v_cmp_ngt_f32_e64 s3, 0xc2ce8ed0, v7
	v_exp_f32_e32 v12, v12
	v_ldexp_f32 v11, v11, v13
	v_cndmask_b32_e64 v14, 0, v8, s3
	v_cmp_nlt_f32_e64 s3, 0x42b17218, v9
	v_cvt_i32_f32_e32 v9, v20
	v_cndmask_b32_e64 v8, 0x7f800000, v5, s3
	v_cmp_nlt_f32_e64 s3, 0x42b17218, v7
	v_cndmask_b32_e64 v7, 0x7f800000, v14, s3
	v_cmp_ngt_f32_e64 s3, 0xc2ce8ed0, v3
	v_cndmask_b32_e64 v5, 0, v11, s3
	v_add_f32_e32 v11, v7, v8
	v_cmp_nlt_f32_e64 s3, 0x42b17218, v3
	v_ldexp_f32 v3, v12, v9
	v_cndmask_b32_e64 v9, v8, v11, s2
	v_cndmask_b32_e64 v5, 0x7f800000, v5, s3
	v_cmp_ngt_f32_e64 s3, 0xc2ce8ed0, v10
	v_add_f32_e32 v11, v5, v9
	v_cndmask_b32_e64 v3, 0, v3, s3
	v_cmp_nlt_f32_e64 s3, 0x42b17218, v10
	v_cndmask_b32_e64 v9, v9, v11, s1
	v_cndmask_b32_e64 v3, 0x7f800000, v3, s3
	v_add_f32_e32 v10, v3, v9
	v_cndmask_b32_e64 v9, v9, v10, s0
	;;#ASMSTART
	s_nop 4
v_add_f32 v9 v9 v9 row_shr:1
s_nop 1
v_add_f32 v9 v9 v9 row_shr:2
s_nop 1
v_add_f32 v9 v9 v9 row_shr:4 bank_mask:0xe
s_nop 1
v_add_f32 v9 v9 v9 row_shr:8 bank_mask:0xc
s_nop 1

	;;#ASMEND
	ds_swizzle_b32 v10, v9 offset:swizzle(BROADCAST,32,15)
	s_and_saveexec_b32 s3, vcc_lo
	s_cbranch_execz .LBB0_10
; %bb.9:
	s_waitcnt lgkmcnt(0)
	v_add_f32_e32 v9, v9, v10
	v_and_b32_e32 v0, 0x7c, v0
	ds_write_b32 v0, v9 offset:32
.LBB0_10:
	s_or_b32 exec_lo, exec_lo, s3
	s_waitcnt lgkmcnt(0)
	s_barrier
	buffer_gl0_inv
	ds_read_b128 v[9:12], v4 offset:32
	ds_read_b128 v[13:16], v4 offset:48
	v_add_co_u32 v1, s3, s10, v1
	v_add_co_ci_u32_e64 v2, s3, s11, v2, s3
	s_waitcnt lgkmcnt(1)
	v_add_f32_e32 v0, 0, v9
	v_add_f32_e32 v0, v0, v10
	;; [unrolled: 1-line block ×4, first 2 shown]
	s_waitcnt lgkmcnt(0)
	v_add_f32_e32 v0, v0, v13
	v_add_f32_e32 v0, v0, v14
	;; [unrolled: 1-line block ×4, first 2 shown]
	v_div_scale_f32 v0, null, v4, v4, v8
	v_div_scale_f32 v11, vcc_lo, v8, v4, v8
	v_rcp_f32_e32 v9, v0
	v_fma_f32 v10, -v0, v9, 1.0
	v_fmac_f32_e32 v9, v10, v9
	v_mul_f32_e32 v10, v11, v9
	v_fma_f32 v12, -v0, v10, v11
	v_fmac_f32_e32 v10, v12, v9
	v_fma_f32 v0, -v0, v10, v11
	v_div_fmas_f32 v9, v0, v9, v10
	v_add_co_u32 v0, vcc_lo, v1, v6
	v_add_co_ci_u32_e32 v1, vcc_lo, 0, v2, vcc_lo
	v_div_fixup_f32 v2, v9, v4, v8
	global_store_dword v[0:1], v2, off
	s_and_saveexec_b32 s3, s2
	s_cbranch_execnz .LBB0_14
; %bb.11:
	s_or_b32 exec_lo, exec_lo, s3
	s_and_saveexec_b32 s2, s1
	s_cbranch_execnz .LBB0_15
.LBB0_12:
	s_or_b32 exec_lo, exec_lo, s2
	s_and_saveexec_b32 s1, s0
	s_cbranch_execnz .LBB0_16
.LBB0_13:
	s_endpgm
.LBB0_14:
	v_div_scale_f32 v2, null, v4, v4, v7
	v_rcp_f32_e32 v6, v2
	v_fma_f32 v8, -v2, v6, 1.0
	v_fmac_f32_e32 v6, v8, v6
	v_div_scale_f32 v8, vcc_lo, v7, v4, v7
	v_mul_f32_e32 v9, v8, v6
	v_fma_f32 v10, -v2, v9, v8
	v_fmac_f32_e32 v9, v10, v6
	v_fma_f32 v2, -v2, v9, v8
	v_div_fmas_f32 v2, v2, v6, v9
	v_div_fixup_f32 v2, v2, v4, v7
	global_store_dword v[0:1], v2, off offset:1024
	s_or_b32 exec_lo, exec_lo, s3
	s_and_saveexec_b32 s2, s1
	s_cbranch_execz .LBB0_12
.LBB0_15:
	v_div_scale_f32 v2, null, v4, v4, v5
	v_div_scale_f32 v8, vcc_lo, v5, v4, v5
	v_rcp_f32_e32 v6, v2
	v_fma_f32 v7, -v2, v6, 1.0
	v_fmac_f32_e32 v6, v7, v6
	v_mul_f32_e32 v7, v8, v6
	v_fma_f32 v9, -v2, v7, v8
	v_fmac_f32_e32 v7, v9, v6
	v_fma_f32 v2, -v2, v7, v8
	v_div_fmas_f32 v2, v2, v6, v7
	v_div_fixup_f32 v2, v2, v4, v5
	v_add_co_u32 v5, vcc_lo, 0x800, v0
	v_add_co_ci_u32_e32 v6, vcc_lo, 0, v1, vcc_lo
	global_store_dword v[5:6], v2, off
	s_or_b32 exec_lo, exec_lo, s2
	s_and_saveexec_b32 s1, s0
	s_cbranch_execz .LBB0_13
.LBB0_16:
	v_div_scale_f32 v2, null, v4, v4, v3
	v_div_scale_f32 v7, vcc_lo, v3, v4, v3
	v_rcp_f32_e32 v5, v2
	v_fma_f32 v6, -v2, v5, 1.0
	v_fmac_f32_e32 v5, v6, v5
	v_mul_f32_e32 v6, v7, v5
	v_fma_f32 v8, -v2, v6, v7
	v_fmac_f32_e32 v6, v8, v5
	v_fma_f32 v2, -v2, v6, v7
	v_div_fmas_f32 v2, v2, v5, v6
	v_add_co_u32 v0, vcc_lo, 0x800, v0
	v_add_co_ci_u32_e32 v1, vcc_lo, 0, v1, vcc_lo
	v_div_fixup_f32 v2, v2, v4, v3
	global_store_dword v[0:1], v2, off offset:1024
	s_endpgm
	.section	.rodata,"a",@progbits
	.p2align	6, 0x0
	.amdhsa_kernel softmax_f32
		.amdhsa_group_segment_fixed_size 64
		.amdhsa_private_segment_fixed_size 0
		.amdhsa_kernarg_size 272
		.amdhsa_user_sgpr_count 6
		.amdhsa_user_sgpr_private_segment_buffer 1
		.amdhsa_user_sgpr_dispatch_ptr 0
		.amdhsa_user_sgpr_queue_ptr 0
		.amdhsa_user_sgpr_kernarg_segment_ptr 1
		.amdhsa_user_sgpr_dispatch_id 0
		.amdhsa_user_sgpr_flat_scratch_init 0
		.amdhsa_user_sgpr_private_segment_size 0
		.amdhsa_wavefront_size32 1
		.amdhsa_uses_dynamic_stack 0
		.amdhsa_system_sgpr_private_segment_wavefront_offset 0
		.amdhsa_system_sgpr_workgroup_id_x 1
		.amdhsa_system_sgpr_workgroup_id_y 0
		.amdhsa_system_sgpr_workgroup_id_z 0
		.amdhsa_system_sgpr_workgroup_info 0
		.amdhsa_system_vgpr_workitem_id 0
		.amdhsa_next_free_vgpr 21
		.amdhsa_next_free_sgpr 12
		.amdhsa_reserve_vcc 1
		.amdhsa_reserve_flat_scratch 0
		.amdhsa_float_round_mode_32 0
		.amdhsa_float_round_mode_16_64 0
		.amdhsa_float_denorm_mode_32 3
		.amdhsa_float_denorm_mode_16_64 3
		.amdhsa_dx10_clamp 1
		.amdhsa_ieee_mode 1
		.amdhsa_fp16_overflow 0
		.amdhsa_workgroup_processor_mode 1
		.amdhsa_memory_ordered 1
		.amdhsa_forward_progress 0
		.amdhsa_shared_vgpr_count 0
		.amdhsa_exception_fp_ieee_invalid_op 0
		.amdhsa_exception_fp_denorm_src 0
		.amdhsa_exception_fp_ieee_div_zero 0
		.amdhsa_exception_fp_ieee_overflow 0
		.amdhsa_exception_fp_ieee_underflow 0
		.amdhsa_exception_fp_ieee_inexact 0
		.amdhsa_exception_int_div_zero 0
	.end_amdhsa_kernel
	.text
.Lfunc_end0:
	.size	softmax_f32, .Lfunc_end0-softmax_f32
                                        ; -- End function
	.section	.AMDGPU.csdata,"",@progbits
; Kernel info:
; codeLenInByte = 1816
; NumSgprs: 14
; NumVgprs: 21
; ScratchSize: 0
; MemoryBound: 0
; FloatMode: 240
; IeeeMode: 1
; LDSByteSize: 64 bytes/workgroup (compile time only)
; SGPRBlocks: 1
; VGPRBlocks: 2
; NumSGPRsForWavesPerEU: 14
; NumVGPRsForWavesPerEU: 21
; Occupancy: 16
; WaveLimiterHint : 0
; COMPUTE_PGM_RSRC2:SCRATCH_EN: 0
; COMPUTE_PGM_RSRC2:USER_SGPR: 6
; COMPUTE_PGM_RSRC2:TRAP_HANDLER: 0
; COMPUTE_PGM_RSRC2:TGID_X_EN: 1
; COMPUTE_PGM_RSRC2:TGID_Y_EN: 0
; COMPUTE_PGM_RSRC2:TGID_Z_EN: 0
; COMPUTE_PGM_RSRC2:TIDIG_COMP_CNT: 0
	.text
	.protected	softmax_f16             ; -- Begin function softmax_f16
	.globl	softmax_f16
	.p2align	8
	.type	softmax_f16,@function
softmax_f16:                            ; @softmax_f16
; %bb.0:
	s_clause 0x1
	s_load_dword s0, s[4:5], 0x1c
	s_load_dwordx4 s[8:11], s[4:5], 0x0
	v_mov_b32_e32 v3, 0
	v_cmp_gt_u32_e32 vcc_lo, 0x310, v0
	v_lshlrev_b32_e32 v4, 1, v0
	v_mov_b32_e32 v5, 0
	s_waitcnt lgkmcnt(0)
	s_and_b32 s0, s0, 0xffff
	v_mad_u64_u32 v[1:2], null, s6, s0, v[0:1]
	v_lshrrev_b32_e32 v2, 12, v1
	v_bfe_u32 v1, v1, 8, 4
	v_mul_u32_u24_e32 v2, 0x3100, v2
	v_mad_u32_u24 v2, 0x310, v1, v2
	v_lshlrev_b64 v[1:2], 1, v[2:3]
	v_add_co_u32 v8, s0, s8, v1
	v_add_co_ci_u32_e64 v9, s0, s9, v2, s0
	s_and_saveexec_b32 s1, vcc_lo
	s_cbranch_execz .LBB1_2
; %bb.1:
	v_add_co_u32 v5, s0, v8, v4
	v_add_co_ci_u32_e64 v6, s0, 0, v9, s0
	global_load_ushort v5, v[5:6], off
.LBB1_2:
	s_or_b32 exec_lo, exec_lo, s1
	v_cmp_gt_u32_e64 s2, 0x210, v0
	s_and_saveexec_b32 s1, s2
	s_cbranch_execz .LBB1_4
; %bb.3:
	v_add_co_u32 v6, s0, v8, v4
	v_add_co_ci_u32_e64 v7, s0, 0, v9, s0
	global_load_ushort v3, v[6:7], off offset:512
.LBB1_4:
	s_or_b32 exec_lo, exec_lo, s1
	v_cmp_gt_u32_e64 s1, 0x110, v0
	v_mov_b32_e32 v6, 0
	v_mov_b32_e32 v7, 0
	s_and_saveexec_b32 s3, s1
	s_cbranch_execz .LBB1_6
; %bb.5:
	v_add_co_u32 v10, s0, v8, v4
	v_add_co_ci_u32_e64 v11, s0, 0, v9, s0
	global_load_ushort v7, v[10:11], off offset:1024
.LBB1_6:
	s_or_b32 exec_lo, exec_lo, s3
	v_cmp_gt_u32_e64 s0, 16, v0
	s_and_saveexec_b32 s4, s0
	s_cbranch_execz .LBB1_8
; %bb.7:
	v_add_co_u32 v8, s3, v8, v4
	v_add_co_ci_u32_e64 v9, s3, 0, v9, s3
	global_load_ushort v6, v[8:9], off offset:1536
.LBB1_8:
	s_or_b32 exec_lo, exec_lo, s4
	s_waitcnt vmcnt(0)
	v_and_b32_e32 v8, 0x7fff, v5
	v_cmp_gt_f16_e64 s4, 0xfbff, v5
	v_cmp_gt_u16_e64 s3, 0x7c01, v8
	v_cndmask_b32_e64 v8, v5, 0xfbff, s4
	s_and_b32 s5, vcc_lo, s3
	v_cndmask_b32_e64 v8, 0xfbff, v8, s5
	s_and_saveexec_b32 s7, s2
	s_cbranch_execnz .LBB1_21
; %bb.9:
	s_or_b32 exec_lo, exec_lo, s7
	s_and_saveexec_b32 s6, s1
	s_cbranch_execnz .LBB1_22
.LBB1_10:
	s_or_b32 exec_lo, exec_lo, s6
	s_and_saveexec_b32 s6, s0
	s_cbranch_execz .LBB1_12
.LBB1_11:
	v_and_b32_e32 v9, 0x7fff, v8
	v_and_b32_e32 v10, 0x7fff, v6
	v_cmp_gt_f16_e64 s5, v8, v6
	v_cmp_lt_u16_e64 s3, 0x7c00, v9
	v_cmp_lt_u16_e64 s4, 0x7c00, v10
	v_cndmask_b32_e64 v9, v6, v8, s5
	v_cmp_gt_u16_e64 s5, 0x7c01, v10
	s_and_b32 s4, s4, s3
	v_cndmask_b32_e64 v9, v9, 0x7fff, s4
	s_or_b32 s4, s5, s3
	s_and_b32 s3, s5, s3
	v_cndmask_b32_e64 v8, v8, v9, s4
	v_cndmask_b32_e64 v8, v8, v6, s3
.LBB1_12:
	s_or_b32 exec_lo, exec_lo, s6
	;;#ASMSTART
	s_nop 4
v_max_f16 v8 v8 v8 row_shr:1
s_nop 1
v_max_f16 v8 v8 v8 row_shr:2
s_nop 1
v_max_f16 v8 v8 v8 row_shr:4 bank_mask:0xe
s_nop 1
v_max_f16 v8 v8 v8 row_shr:8 bank_mask:0xc
s_nop 1

	;;#ASMEND
	v_and_b32_e32 v9, 0xffff, v8
	v_and_b32_e32 v10, 31, v0
	ds_swizzle_b32 v9, v9 offset:swizzle(BROADCAST,32,15)
	v_cmp_eq_u32_e64 s3, 31, v10
	s_and_saveexec_b32 s7, s3
	s_cbranch_execz .LBB1_14
; %bb.13:
	v_and_b32_e32 v10, 0x7fff, v8
	s_waitcnt lgkmcnt(0)
	v_and_b32_e32 v11, 0x7fff, v9
	v_cmp_gt_f16_e64 s6, v8, v9
	v_cmp_lt_u16_e64 s4, 0x7c00, v10
	v_cmp_lt_u16_e64 s5, 0x7c00, v11
	v_cndmask_b32_e64 v10, v9, v8, s6
	v_cmp_gt_u16_e64 s6, 0x7c01, v11
	v_lshrrev_b32_e32 v11, 4, v0
	s_and_b32 s5, s4, s5
	v_cndmask_b32_e64 v10, v10, 0x7fff, s5
	s_or_b32 s5, s4, s6
	s_and_b32 s4, s4, s6
	v_cndmask_b32_e64 v8, v8, v10, s5
	v_and_b32_e32 v10, 62, v11
	v_cndmask_b32_e64 v8, v8, v9, s4
	ds_write_b16 v10, v8 offset:32
.LBB1_14:
	s_or_b32 exec_lo, exec_lo, s7
	v_mov_b32_e32 v8, 0
	s_waitcnt lgkmcnt(0)
	s_barrier
	buffer_gl0_inv
	ds_read_b128 v[9:12], v8 offset:32
	s_waitcnt lgkmcnt(0)
	v_cmp_gt_f16_e64 s4, 0xfbff, v9
	v_lshrrev_b32_e32 v13, 16, v9
	v_cndmask_b32_e64 v14, v9, 0xfbff, s4
	v_cndmask_b32_e64 v15, v9, 0x7bff, s4
	v_and_b32_e32 v9, 0x7fff, v9
	v_and_b32_e32 v16, 0x7fff, v13
	;; [unrolled: 1-line block ×3, first 2 shown]
	v_cmp_gt_u16_e64 s4, 0x7c01, v9
	v_cmp_lt_u16_e64 s6, 0x7c00, v16
	v_cmp_lt_u16_e64 s5, 0x7c00, v15
	v_cndmask_b32_e64 v9, 0xfbff, v14, s4
	v_cmp_gt_f16_e64 s7, v9, v13
	v_cndmask_b32_e64 v14, v13, v9, s7
	s_and_b32 s7, s4, s5
	v_cmp_gt_u16_e64 s4, 0x7c01, v16
	s_and_b32 s5, s6, s7
	v_cndmask_b32_e64 v14, v14, 0x7fff, s5
	s_or_b32 s5, s4, s7
	s_and_b32 s4, s4, s7
	v_cndmask_b32_e64 v9, v9, v14, s5
	v_cndmask_b32_e64 v9, v9, v13, s4
	v_and_b32_e32 v13, 0x7fff, v10
	v_and_b32_e32 v14, 0x7fff, v9
	v_cmp_gt_f16_e64 s6, v9, v10
	v_cmp_lt_u16_e64 s4, 0x7c00, v13
	v_cmp_lt_u16_e64 s5, 0x7c00, v14
	v_cndmask_b32_e64 v14, v10, v9, s6
	v_cmp_gt_u16_e64 s6, 0x7c01, v13
	s_and_b32 s4, s4, s5
	v_cndmask_b32_e64 v13, v14, 0x7fff, s4
	s_or_b32 s4, s6, s5
	v_cndmask_b32_e64 v9, v9, v13, s4
	s_and_b32 s4, s6, s5
	v_lshrrev_b32_e32 v13, 16, v10
	v_cndmask_b32_e64 v9, v9, v10, s4
	v_and_b32_e32 v10, 0x7fff, v13
	v_and_b32_e32 v14, 0x7fff, v9
	v_cmp_gt_f16_e64 s6, v9, v13
	v_cmp_lt_u16_e64 s4, 0x7c00, v10
	v_cmp_lt_u16_e64 s5, 0x7c00, v14
	v_cndmask_b32_e64 v14, v13, v9, s6
	v_cmp_gt_u16_e64 s6, 0x7c01, v10
	s_and_b32 s4, s4, s5
	v_cndmask_b32_e64 v10, v14, 0x7fff, s4
	s_or_b32 s4, s6, s5
	v_cndmask_b32_e64 v9, v9, v10, s4
	s_and_b32 s4, s6, s5
	v_and_b32_e32 v10, 0x7fff, v11
	v_cndmask_b32_e64 v9, v9, v13, s4
	v_cmp_lt_u16_e64 s4, 0x7c00, v10
	v_and_b32_e32 v13, 0x7fff, v9
	v_cmp_gt_f16_e64 s6, v9, v11
	v_cmp_lt_u16_e64 s5, 0x7c00, v13
	v_cndmask_b32_e64 v13, v11, v9, s6
	v_cmp_gt_u16_e64 s6, 0x7c01, v10
	s_and_b32 s4, s4, s5
	v_cndmask_b32_e64 v10, v13, 0x7fff, s4
	s_or_b32 s4, s6, s5
	v_cndmask_b32_e64 v9, v9, v10, s4
	s_and_b32 s4, s6, s5
	v_lshrrev_b32_e32 v10, 16, v11
	v_cndmask_b32_e64 v9, v9, v11, s4
	v_and_b32_e32 v11, 0x7fff, v10
	v_and_b32_e32 v13, 0x7fff, v9
	v_cmp_gt_f16_e64 s6, v9, v10
	v_cmp_lt_u16_e64 s4, 0x7c00, v11
	v_cmp_lt_u16_e64 s5, 0x7c00, v13
	v_cndmask_b32_e64 v13, v10, v9, s6
	v_cmp_gt_u16_e64 s6, 0x7c01, v11
	s_and_b32 s4, s4, s5
	v_cndmask_b32_e64 v11, v13, 0x7fff, s4
	s_or_b32 s4, s6, s5
	v_cndmask_b32_e64 v9, v9, v11, s4
	s_and_b32 s4, s6, s5
	v_cndmask_b32_e64 v9, v9, v10, s4
	v_and_b32_e32 v10, 0x7fff, v12
	v_and_b32_e32 v11, 0x7fff, v9
	v_cmp_gt_f16_e64 s6, v9, v12
	v_cmp_lt_u16_e64 s4, 0x7c00, v10
	v_cmp_lt_u16_e64 s5, 0x7c00, v11
	v_cndmask_b32_e64 v11, v12, v9, s6
	v_cmp_gt_u16_e64 s6, 0x7c01, v10
	s_and_b32 s4, s4, s5
	v_cndmask_b32_e64 v10, v11, 0x7fff, s4
	s_or_b32 s4, s6, s5
	v_cndmask_b32_e64 v9, v9, v10, s4
	s_and_b32 s4, s6, s5
	v_lshrrev_b32_e32 v10, 16, v12
	v_cndmask_b32_e64 v9, v9, v12, s4
	v_and_b32_e32 v11, 0x7fff, v10
	v_and_b32_e32 v12, 0x7fff, v9
	v_cmp_gt_f16_e64 s6, v9, v10
	v_cmp_lt_u16_e64 s4, 0x7c00, v11
	v_cmp_lt_u16_e64 s5, 0x7c00, v12
	v_cndmask_b32_e64 v12, v10, v9, s6
	v_cmp_gt_u16_e64 s6, 0x7c01, v11
	s_and_b32 s4, s4, s5
	v_cndmask_b32_e64 v11, v12, 0x7fff, s4
	s_or_b32 s4, s6, s5
	v_cndmask_b32_e64 v9, v9, v11, s4
	s_and_b32 s4, s6, s5
	v_cndmask_b32_e64 v9, v9, v10, s4
	v_sub_f16_e32 v10, v5, v9
	v_sub_f16_e32 v11, v3, v9
	;; [unrolled: 1-line block ×4, first 2 shown]
	v_cvt_f32_f16_e32 v10, v10
	v_cvt_f32_f16_e32 v11, v11
	v_cvt_f32_f16_e32 v12, v12
	v_mul_f32_e32 v10, 0x3fb8aa3b, v10
	v_mul_f32_e32 v11, 0x3fb8aa3b, v11
	v_mul_f32_e32 v12, 0x3fb8aa3b, v12
	v_exp_f32_e32 v10, v10
	v_exp_f32_e32 v11, v11
	;; [unrolled: 1-line block ×3, first 2 shown]
	v_cvt_f16_f32_e32 v10, v10
	v_cvt_f16_f32_e32 v11, v11
	;; [unrolled: 1-line block ×3, first 2 shown]
	v_cndmask_b32_e32 v5, v5, v10, vcc_lo
	v_cndmask_b32_e64 v3, v3, v11, s2
	v_cvt_f32_f16_e32 v10, v5
	v_cvt_f32_f16_e32 v5, v9
	v_cvt_f32_f16_e32 v9, v3
	v_add_f32_e32 v11, 0, v10
	v_mul_f32_e32 v5, 0x3fb8aa3b, v5
	v_cndmask_b32_e32 v3, 0, v11, vcc_lo
	v_exp_f32_e32 v11, v5
	v_cndmask_b32_e64 v5, v7, v12, s1
	v_add_f32_e32 v7, v3, v9
	v_cvt_f32_f16_e32 v5, v5
	v_cndmask_b32_e64 v3, v3, v7, s2
	v_cvt_f16_f32_e32 v7, v11
	v_add_f32_e32 v11, v3, v5
	v_cndmask_b32_e64 v6, v6, v7, s0
	v_cndmask_b32_e64 v7, v3, v11, s1
	v_cvt_f32_f16_e32 v3, v6
	v_add_f32_e32 v6, v7, v3
	v_cndmask_b32_e64 v6, v7, v6, s0
	;;#ASMSTART
	s_nop 4
v_add_f32 v6 v6 v6 row_shr:1
s_nop 1
v_add_f32 v6 v6 v6 row_shr:2
s_nop 1
v_add_f32 v6 v6 v6 row_shr:4 bank_mask:0xe
s_nop 1
v_add_f32 v6 v6 v6 row_shr:8 bank_mask:0xc
s_nop 1

	;;#ASMEND
	ds_swizzle_b32 v7, v6 offset:swizzle(BROADCAST,32,15)
	s_and_saveexec_b32 s4, s3
	s_cbranch_execz .LBB1_16
; %bb.15:
	v_lshrrev_b32_e32 v0, 3, v0
	s_waitcnt lgkmcnt(0)
	v_add_f32_e32 v6, v6, v7
	v_and_b32_e32 v0, 0x7c, v0
	ds_write_b32 v0, v6
.LBB1_16:
	s_or_b32 exec_lo, exec_lo, s4
	s_waitcnt lgkmcnt(0)
	s_barrier
	buffer_gl0_inv
	ds_read_b128 v[11:14], v8
	ds_read_b128 v[15:18], v8 offset:16
	v_add_co_u32 v1, s3, s10, v1
	v_add_co_ci_u32_e64 v2, s3, s11, v2, s3
	s_waitcnt lgkmcnt(1)
	v_add_f32_e32 v0, 0, v11
	v_add_f32_e32 v0, v0, v12
	;; [unrolled: 1-line block ×4, first 2 shown]
	s_waitcnt lgkmcnt(0)
	v_add_f32_e32 v0, v0, v15
	v_add_f32_e32 v0, v0, v16
	;; [unrolled: 1-line block ×4, first 2 shown]
	s_and_saveexec_b32 s3, vcc_lo
	s_cbranch_execnz .LBB1_23
; %bb.17:
	s_or_b32 exec_lo, exec_lo, s3
	s_and_saveexec_b32 s3, s2
	s_cbranch_execnz .LBB1_24
.LBB1_18:
	s_or_b32 exec_lo, exec_lo, s3
	s_and_saveexec_b32 s2, s1
	s_cbranch_execnz .LBB1_25
.LBB1_19:
	s_or_b32 exec_lo, exec_lo, s2
	s_and_saveexec_b32 s1, s0
	s_cbranch_execnz .LBB1_26
.LBB1_20:
	s_endpgm
.LBB1_21:
	v_cndmask_b32_e64 v9, v5, 0x7bff, s4
	v_and_b32_e32 v10, 0x7fff, v3
	v_cmp_gt_f16_e64 s6, v8, v3
	v_and_b32_e32 v9, 0x7fff, v9
	v_cmp_lt_u16_e64 s5, 0x7c00, v10
	v_cmp_lt_u16_e64 s4, 0x7c00, v9
	v_cndmask_b32_e64 v9, v3, v8, s6
	s_and_b32 s6, s3, s4
	v_cmp_gt_u16_e64 s3, 0x7c01, v10
	s_and_b32 s4, s6, s5
	v_cndmask_b32_e64 v9, v9, 0x7fff, s4
	s_or_b32 s4, s6, s3
	s_and_b32 s3, s6, s3
	v_cndmask_b32_e64 v8, v8, v9, s4
	v_cndmask_b32_e64 v8, v8, v3, s3
	s_or_b32 exec_lo, exec_lo, s7
	s_and_saveexec_b32 s6, s1
	s_cbranch_execz .LBB1_10
.LBB1_22:
	v_and_b32_e32 v9, 0x7fff, v8
	v_and_b32_e32 v10, 0x7fff, v7
	v_cmp_gt_f16_e64 s5, v8, v7
	v_cmp_lt_u16_e64 s3, 0x7c00, v9
	v_cmp_lt_u16_e64 s4, 0x7c00, v10
	v_cndmask_b32_e64 v9, v7, v8, s5
	v_cmp_gt_u16_e64 s5, 0x7c01, v10
	s_and_b32 s4, s4, s3
	v_cndmask_b32_e64 v9, v9, 0x7fff, s4
	s_or_b32 s4, s5, s3
	s_and_b32 s3, s5, s3
	v_cndmask_b32_e64 v8, v8, v9, s4
	v_cndmask_b32_e64 v8, v8, v7, s3
	s_or_b32 exec_lo, exec_lo, s6
	s_and_saveexec_b32 s6, s0
	s_cbranch_execnz .LBB1_11
	s_branch .LBB1_12
.LBB1_23:
	v_div_scale_f32 v6, null, v0, v0, v10
	v_rcp_f32_e32 v7, v6
	v_fma_f32 v8, -v6, v7, 1.0
	v_fmac_f32_e32 v7, v8, v7
	v_div_scale_f32 v8, vcc_lo, v10, v0, v10
	v_mul_f32_e32 v11, v8, v7
	v_fma_f32 v12, -v6, v11, v8
	v_fmac_f32_e32 v11, v12, v7
	v_fma_f32 v6, -v6, v11, v8
	v_div_fmas_f32 v6, v6, v7, v11
	v_div_fixup_f32 v8, v6, v0, v10
	v_add_co_u32 v6, vcc_lo, v1, v4
	v_add_co_ci_u32_e32 v7, vcc_lo, 0, v2, vcc_lo
	v_cvt_f16_f32_e32 v8, v8
	global_store_short v[6:7], v8, off
	s_or_b32 exec_lo, exec_lo, s3
	s_and_saveexec_b32 s3, s2
	s_cbranch_execz .LBB1_18
.LBB1_24:
	v_div_scale_f32 v6, null, v0, v0, v9
	v_rcp_f32_e32 v7, v6
	v_fma_f32 v8, -v6, v7, 1.0
	v_fmac_f32_e32 v7, v8, v7
	v_div_scale_f32 v8, vcc_lo, v9, v0, v9
	v_mul_f32_e32 v10, v8, v7
	v_fma_f32 v11, -v6, v10, v8
	v_fmac_f32_e32 v10, v11, v7
	v_fma_f32 v6, -v6, v10, v8
	v_div_fmas_f32 v6, v6, v7, v10
	v_div_fixup_f32 v8, v6, v0, v9
	v_add_co_u32 v6, vcc_lo, v1, v4
	v_add_co_ci_u32_e32 v7, vcc_lo, 0, v2, vcc_lo
	v_cvt_f16_f32_e32 v8, v8
	global_store_short v[6:7], v8, off offset:512
	s_or_b32 exec_lo, exec_lo, s3
	s_and_saveexec_b32 s2, s1
	s_cbranch_execz .LBB1_19
.LBB1_25:
	v_div_scale_f32 v6, null, v0, v0, v5
	v_rcp_f32_e32 v7, v6
	v_fma_f32 v8, -v6, v7, 1.0
	v_fmac_f32_e32 v7, v8, v7
	v_div_scale_f32 v8, vcc_lo, v5, v0, v5
	v_mul_f32_e32 v9, v8, v7
	v_fma_f32 v10, -v6, v9, v8
	v_fmac_f32_e32 v9, v10, v7
	v_fma_f32 v6, -v6, v9, v8
	v_div_fmas_f32 v6, v6, v7, v9
	v_div_fixup_f32 v7, v6, v0, v5
	v_add_co_u32 v5, vcc_lo, v1, v4
	v_add_co_ci_u32_e32 v6, vcc_lo, 0, v2, vcc_lo
	v_cvt_f16_f32_e32 v7, v7
	global_store_short v[5:6], v7, off offset:1024
	s_or_b32 exec_lo, exec_lo, s2
	s_and_saveexec_b32 s1, s0
	s_cbranch_execz .LBB1_20
.LBB1_26:
	v_div_scale_f32 v5, null, v0, v0, v3
	v_rcp_f32_e32 v6, v5
	v_fma_f32 v7, -v5, v6, 1.0
	v_fmac_f32_e32 v6, v7, v6
	v_div_scale_f32 v7, vcc_lo, v3, v0, v3
	v_mul_f32_e32 v8, v7, v6
	v_fma_f32 v9, -v5, v8, v7
	v_fmac_f32_e32 v8, v9, v6
	v_fma_f32 v5, -v5, v8, v7
	v_div_fmas_f32 v5, v5, v6, v8
	v_div_fixup_f32 v3, v5, v0, v3
	v_add_co_u32 v0, vcc_lo, v1, v4
	v_add_co_ci_u32_e32 v1, vcc_lo, 0, v2, vcc_lo
	v_cvt_f16_f32_e32 v2, v3
	global_store_short v[0:1], v2, off offset:1536
	s_endpgm
	.section	.rodata,"a",@progbits
	.p2align	6, 0x0
	.amdhsa_kernel softmax_f16
		.amdhsa_group_segment_fixed_size 48
		.amdhsa_private_segment_fixed_size 0
		.amdhsa_kernarg_size 272
		.amdhsa_user_sgpr_count 6
		.amdhsa_user_sgpr_private_segment_buffer 1
		.amdhsa_user_sgpr_dispatch_ptr 0
		.amdhsa_user_sgpr_queue_ptr 0
		.amdhsa_user_sgpr_kernarg_segment_ptr 1
		.amdhsa_user_sgpr_dispatch_id 0
		.amdhsa_user_sgpr_flat_scratch_init 0
		.amdhsa_user_sgpr_private_segment_size 0
		.amdhsa_wavefront_size32 1
		.amdhsa_uses_dynamic_stack 0
		.amdhsa_system_sgpr_private_segment_wavefront_offset 0
		.amdhsa_system_sgpr_workgroup_id_x 1
		.amdhsa_system_sgpr_workgroup_id_y 0
		.amdhsa_system_sgpr_workgroup_id_z 0
		.amdhsa_system_sgpr_workgroup_info 0
		.amdhsa_system_vgpr_workitem_id 0
		.amdhsa_next_free_vgpr 19
		.amdhsa_next_free_sgpr 12
		.amdhsa_reserve_vcc 1
		.amdhsa_reserve_flat_scratch 0
		.amdhsa_float_round_mode_32 0
		.amdhsa_float_round_mode_16_64 0
		.amdhsa_float_denorm_mode_32 3
		.amdhsa_float_denorm_mode_16_64 3
		.amdhsa_dx10_clamp 1
		.amdhsa_ieee_mode 1
		.amdhsa_fp16_overflow 0
		.amdhsa_workgroup_processor_mode 1
		.amdhsa_memory_ordered 1
		.amdhsa_forward_progress 0
		.amdhsa_shared_vgpr_count 0
		.amdhsa_exception_fp_ieee_invalid_op 0
		.amdhsa_exception_fp_denorm_src 0
		.amdhsa_exception_fp_ieee_div_zero 0
		.amdhsa_exception_fp_ieee_overflow 0
		.amdhsa_exception_fp_ieee_underflow 0
		.amdhsa_exception_fp_ieee_inexact 0
		.amdhsa_exception_int_div_zero 0
	.end_amdhsa_kernel
	.text
.Lfunc_end1:
	.size	softmax_f16, .Lfunc_end1-softmax_f16
                                        ; -- End function
	.section	.AMDGPU.csdata,"",@progbits
; Kernel info:
; codeLenInByte = 2964
; NumSgprs: 14
; NumVgprs: 19
; ScratchSize: 0
; MemoryBound: 0
; FloatMode: 240
; IeeeMode: 1
; LDSByteSize: 48 bytes/workgroup (compile time only)
; SGPRBlocks: 1
; VGPRBlocks: 2
; NumSGPRsForWavesPerEU: 14
; NumVGPRsForWavesPerEU: 19
; Occupancy: 16
; WaveLimiterHint : 0
; COMPUTE_PGM_RSRC2:SCRATCH_EN: 0
; COMPUTE_PGM_RSRC2:USER_SGPR: 6
; COMPUTE_PGM_RSRC2:TRAP_HANDLER: 0
; COMPUTE_PGM_RSRC2:TGID_X_EN: 1
; COMPUTE_PGM_RSRC2:TGID_Y_EN: 0
; COMPUTE_PGM_RSRC2:TGID_Z_EN: 0
; COMPUTE_PGM_RSRC2:TIDIG_COMP_CNT: 0
	.text
	.p2alignl 6, 3214868480
	.fill 48, 4, 3214868480
	.type	__hip_cuid_7930d8e2c584d68d,@object ; @__hip_cuid_7930d8e2c584d68d
	.section	.bss,"aw",@nobits
	.globl	__hip_cuid_7930d8e2c584d68d
__hip_cuid_7930d8e2c584d68d:
	.byte	0                               ; 0x0
	.size	__hip_cuid_7930d8e2c584d68d, 1

	.ident	"AMD clang version 19.0.0git (https://github.com/RadeonOpenCompute/llvm-project roc-6.4.0 25133 c7fe45cf4b819c5991fe208aaa96edf142730f1d)"
	.section	".note.GNU-stack","",@progbits
	.addrsig
	.addrsig_sym __hip_cuid_7930d8e2c584d68d
	.amdgpu_metadata
---
amdhsa.kernels:
  - .args:
      - .address_space:  global
        .offset:         0
        .size:           8
        .value_kind:     global_buffer
      - .address_space:  global
        .offset:         8
        .size:           8
        .value_kind:     global_buffer
      - .offset:         16
        .size:           4
        .value_kind:     hidden_block_count_x
      - .offset:         20
        .size:           4
        .value_kind:     hidden_block_count_y
      - .offset:         24
        .size:           4
        .value_kind:     hidden_block_count_z
      - .offset:         28
        .size:           2
        .value_kind:     hidden_group_size_x
      - .offset:         30
        .size:           2
        .value_kind:     hidden_group_size_y
      - .offset:         32
        .size:           2
        .value_kind:     hidden_group_size_z
      - .offset:         34
        .size:           2
        .value_kind:     hidden_remainder_x
      - .offset:         36
        .size:           2
        .value_kind:     hidden_remainder_y
      - .offset:         38
        .size:           2
        .value_kind:     hidden_remainder_z
      - .offset:         56
        .size:           8
        .value_kind:     hidden_global_offset_x
      - .offset:         64
        .size:           8
        .value_kind:     hidden_global_offset_y
      - .offset:         72
        .size:           8
        .value_kind:     hidden_global_offset_z
      - .offset:         80
        .size:           2
        .value_kind:     hidden_grid_dims
    .group_segment_fixed_size: 64
    .kernarg_segment_align: 8
    .kernarg_segment_size: 272
    .language:       OpenCL C
    .language_version:
      - 2
      - 0
    .max_flat_workgroup_size: 1024
    .name:           softmax_f32
    .private_segment_fixed_size: 0
    .sgpr_count:     14
    .sgpr_spill_count: 0
    .symbol:         softmax_f32.kd
    .uniform_work_group_size: 1
    .uses_dynamic_stack: false
    .vgpr_count:     21
    .vgpr_spill_count: 0
    .wavefront_size: 32
    .workgroup_processor_mode: 1
  - .args:
      - .address_space:  global
        .offset:         0
        .size:           8
        .value_kind:     global_buffer
      - .address_space:  global
        .offset:         8
        .size:           8
        .value_kind:     global_buffer
      - .offset:         16
        .size:           4
        .value_kind:     hidden_block_count_x
      - .offset:         20
        .size:           4
        .value_kind:     hidden_block_count_y
      - .offset:         24
        .size:           4
        .value_kind:     hidden_block_count_z
      - .offset:         28
        .size:           2
        .value_kind:     hidden_group_size_x
      - .offset:         30
        .size:           2
        .value_kind:     hidden_group_size_y
      - .offset:         32
        .size:           2
        .value_kind:     hidden_group_size_z
      - .offset:         34
        .size:           2
        .value_kind:     hidden_remainder_x
      - .offset:         36
        .size:           2
        .value_kind:     hidden_remainder_y
      - .offset:         38
        .size:           2
        .value_kind:     hidden_remainder_z
      - .offset:         56
        .size:           8
        .value_kind:     hidden_global_offset_x
      - .offset:         64
        .size:           8
        .value_kind:     hidden_global_offset_y
      - .offset:         72
        .size:           8
        .value_kind:     hidden_global_offset_z
      - .offset:         80
        .size:           2
        .value_kind:     hidden_grid_dims
    .group_segment_fixed_size: 48
    .kernarg_segment_align: 8
    .kernarg_segment_size: 272
    .language:       OpenCL C
    .language_version:
      - 2
      - 0
    .max_flat_workgroup_size: 1024
    .name:           softmax_f16
    .private_segment_fixed_size: 0
    .sgpr_count:     14
    .sgpr_spill_count: 0
    .symbol:         softmax_f16.kd
    .uniform_work_group_size: 1
    .uses_dynamic_stack: false
    .vgpr_count:     19
    .vgpr_spill_count: 0
    .wavefront_size: 32
    .workgroup_processor_mode: 1
amdhsa.target:   amdgcn-amd-amdhsa--gfx1030
amdhsa.version:
  - 1
  - 2
...

	.end_amdgpu_metadata
